;; amdgpu-corpus repo=ROCm/rocFFT kind=compiled arch=gfx906 opt=O3
	.text
	.amdgcn_target "amdgcn-amd-amdhsa--gfx906"
	.amdhsa_code_object_version 6
	.protected	fft_rtc_back_len70_factors_2_5_7_wgs_252_tpt_14_halfLds_dp_ip_CI_unitstride_sbrr_C2R_dirReg ; -- Begin function fft_rtc_back_len70_factors_2_5_7_wgs_252_tpt_14_halfLds_dp_ip_CI_unitstride_sbrr_C2R_dirReg
	.globl	fft_rtc_back_len70_factors_2_5_7_wgs_252_tpt_14_halfLds_dp_ip_CI_unitstride_sbrr_C2R_dirReg
	.p2align	8
	.type	fft_rtc_back_len70_factors_2_5_7_wgs_252_tpt_14_halfLds_dp_ip_CI_unitstride_sbrr_C2R_dirReg,@function
fft_rtc_back_len70_factors_2_5_7_wgs_252_tpt_14_halfLds_dp_ip_CI_unitstride_sbrr_C2R_dirReg: ; @fft_rtc_back_len70_factors_2_5_7_wgs_252_tpt_14_halfLds_dp_ip_CI_unitstride_sbrr_C2R_dirReg
; %bb.0:
	s_load_dwordx2 s[2:3], s[4:5], 0x50
	s_load_dwordx4 s[8:11], s[4:5], 0x0
	s_load_dwordx2 s[12:13], s[4:5], 0x18
	v_mul_u32_u24_e32 v1, 0x124a, v0
	v_lshrrev_b32_e32 v1, 16, v1
	v_mad_u64_u32 v[1:2], s[0:1], s6, 18, v[1:2]
	v_mov_b32_e32 v5, 0
	s_waitcnt lgkmcnt(0)
	v_cmp_lt_u64_e64 s[0:1], s[10:11], 2
	v_mov_b32_e32 v2, v5
	v_mov_b32_e32 v3, 0
	;; [unrolled: 1-line block ×3, first 2 shown]
	s_and_b64 vcc, exec, s[0:1]
	v_mov_b32_e32 v4, 0
	v_mov_b32_e32 v9, v1
	s_cbranch_vccnz .LBB0_8
; %bb.1:
	s_load_dwordx2 s[0:1], s[4:5], 0x10
	s_add_u32 s6, s12, 8
	s_addc_u32 s7, s13, 0
	v_mov_b32_e32 v3, 0
	v_mov_b32_e32 v8, v2
	s_waitcnt lgkmcnt(0)
	s_add_u32 s16, s0, 8
	s_mov_b64 s[14:15], 1
	v_mov_b32_e32 v4, 0
	s_addc_u32 s17, s1, 0
	v_mov_b32_e32 v7, v1
.LBB0_2:                                ; =>This Inner Loop Header: Depth=1
	s_load_dwordx2 s[18:19], s[16:17], 0x0
                                        ; implicit-def: $vgpr9_vgpr10
	s_waitcnt lgkmcnt(0)
	v_or_b32_e32 v6, s19, v8
	v_cmp_ne_u64_e32 vcc, 0, v[5:6]
	s_and_saveexec_b64 s[0:1], vcc
	s_xor_b64 s[20:21], exec, s[0:1]
	s_cbranch_execz .LBB0_4
; %bb.3:                                ;   in Loop: Header=BB0_2 Depth=1
	v_cvt_f32_u32_e32 v2, s18
	v_cvt_f32_u32_e32 v6, s19
	s_sub_u32 s0, 0, s18
	s_subb_u32 s1, 0, s19
	v_mac_f32_e32 v2, 0x4f800000, v6
	v_rcp_f32_e32 v2, v2
	v_mul_f32_e32 v2, 0x5f7ffffc, v2
	v_mul_f32_e32 v6, 0x2f800000, v2
	v_trunc_f32_e32 v6, v6
	v_mac_f32_e32 v2, 0xcf800000, v6
	v_cvt_u32_f32_e32 v6, v6
	v_cvt_u32_f32_e32 v2, v2
	v_mul_lo_u32 v9, s0, v6
	v_mul_hi_u32 v10, s0, v2
	v_mul_lo_u32 v12, s1, v2
	v_mul_lo_u32 v11, s0, v2
	v_add_u32_e32 v9, v10, v9
	v_add_u32_e32 v9, v9, v12
	v_mul_hi_u32 v10, v2, v11
	v_mul_lo_u32 v12, v2, v9
	v_mul_hi_u32 v14, v2, v9
	v_mul_hi_u32 v13, v6, v11
	v_mul_lo_u32 v11, v6, v11
	v_mul_hi_u32 v15, v6, v9
	v_add_co_u32_e32 v10, vcc, v10, v12
	v_addc_co_u32_e32 v12, vcc, 0, v14, vcc
	v_mul_lo_u32 v9, v6, v9
	v_add_co_u32_e32 v10, vcc, v10, v11
	v_addc_co_u32_e32 v10, vcc, v12, v13, vcc
	v_addc_co_u32_e32 v11, vcc, 0, v15, vcc
	v_add_co_u32_e32 v9, vcc, v10, v9
	v_addc_co_u32_e32 v10, vcc, 0, v11, vcc
	v_add_co_u32_e32 v2, vcc, v2, v9
	v_addc_co_u32_e32 v6, vcc, v6, v10, vcc
	v_mul_lo_u32 v9, s0, v6
	v_mul_hi_u32 v10, s0, v2
	v_mul_lo_u32 v11, s1, v2
	v_mul_lo_u32 v12, s0, v2
	v_add_u32_e32 v9, v10, v9
	v_add_u32_e32 v9, v9, v11
	v_mul_lo_u32 v13, v2, v9
	v_mul_hi_u32 v14, v2, v12
	v_mul_hi_u32 v15, v2, v9
	;; [unrolled: 1-line block ×3, first 2 shown]
	v_mul_lo_u32 v12, v6, v12
	v_mul_hi_u32 v10, v6, v9
	v_add_co_u32_e32 v13, vcc, v14, v13
	v_addc_co_u32_e32 v14, vcc, 0, v15, vcc
	v_mul_lo_u32 v9, v6, v9
	v_add_co_u32_e32 v12, vcc, v13, v12
	v_addc_co_u32_e32 v11, vcc, v14, v11, vcc
	v_addc_co_u32_e32 v10, vcc, 0, v10, vcc
	v_add_co_u32_e32 v9, vcc, v11, v9
	v_addc_co_u32_e32 v10, vcc, 0, v10, vcc
	v_add_co_u32_e32 v2, vcc, v2, v9
	v_addc_co_u32_e32 v6, vcc, v6, v10, vcc
	v_mad_u64_u32 v[9:10], s[0:1], v7, v6, 0
	v_mul_hi_u32 v11, v7, v2
	v_add_co_u32_e32 v13, vcc, v11, v9
	v_addc_co_u32_e32 v14, vcc, 0, v10, vcc
	v_mad_u64_u32 v[9:10], s[0:1], v8, v2, 0
	v_mad_u64_u32 v[11:12], s[0:1], v8, v6, 0
	v_add_co_u32_e32 v2, vcc, v13, v9
	v_addc_co_u32_e32 v2, vcc, v14, v10, vcc
	v_addc_co_u32_e32 v6, vcc, 0, v12, vcc
	v_add_co_u32_e32 v2, vcc, v2, v11
	v_addc_co_u32_e32 v6, vcc, 0, v6, vcc
	v_mul_lo_u32 v11, s19, v2
	v_mul_lo_u32 v12, s18, v6
	v_mad_u64_u32 v[9:10], s[0:1], s18, v2, 0
	v_add3_u32 v10, v10, v12, v11
	v_sub_u32_e32 v11, v8, v10
	v_mov_b32_e32 v12, s19
	v_sub_co_u32_e32 v9, vcc, v7, v9
	v_subb_co_u32_e64 v11, s[0:1], v11, v12, vcc
	v_subrev_co_u32_e64 v12, s[0:1], s18, v9
	v_subbrev_co_u32_e64 v11, s[0:1], 0, v11, s[0:1]
	v_cmp_le_u32_e64 s[0:1], s19, v11
	v_cndmask_b32_e64 v13, 0, -1, s[0:1]
	v_cmp_le_u32_e64 s[0:1], s18, v12
	v_cndmask_b32_e64 v12, 0, -1, s[0:1]
	v_cmp_eq_u32_e64 s[0:1], s19, v11
	v_cndmask_b32_e64 v11, v13, v12, s[0:1]
	v_add_co_u32_e64 v12, s[0:1], 2, v2
	v_addc_co_u32_e64 v13, s[0:1], 0, v6, s[0:1]
	v_add_co_u32_e64 v14, s[0:1], 1, v2
	v_addc_co_u32_e64 v15, s[0:1], 0, v6, s[0:1]
	v_subb_co_u32_e32 v10, vcc, v8, v10, vcc
	v_cmp_ne_u32_e64 s[0:1], 0, v11
	v_cmp_le_u32_e32 vcc, s19, v10
	v_cndmask_b32_e64 v11, v15, v13, s[0:1]
	v_cndmask_b32_e64 v13, 0, -1, vcc
	v_cmp_le_u32_e32 vcc, s18, v9
	v_cndmask_b32_e64 v9, 0, -1, vcc
	v_cmp_eq_u32_e32 vcc, s19, v10
	v_cndmask_b32_e32 v9, v13, v9, vcc
	v_cmp_ne_u32_e32 vcc, 0, v9
	v_cndmask_b32_e32 v10, v6, v11, vcc
	v_cndmask_b32_e64 v6, v14, v12, s[0:1]
	v_cndmask_b32_e32 v9, v2, v6, vcc
.LBB0_4:                                ;   in Loop: Header=BB0_2 Depth=1
	s_andn2_saveexec_b64 s[0:1], s[20:21]
	s_cbranch_execz .LBB0_6
; %bb.5:                                ;   in Loop: Header=BB0_2 Depth=1
	v_cvt_f32_u32_e32 v2, s18
	s_sub_i32 s20, 0, s18
	v_rcp_iflag_f32_e32 v2, v2
	v_mul_f32_e32 v2, 0x4f7ffffe, v2
	v_cvt_u32_f32_e32 v2, v2
	v_mul_lo_u32 v6, s20, v2
	v_mul_hi_u32 v6, v2, v6
	v_add_u32_e32 v2, v2, v6
	v_mul_hi_u32 v2, v7, v2
	v_mul_lo_u32 v6, v2, s18
	v_add_u32_e32 v9, 1, v2
	v_sub_u32_e32 v6, v7, v6
	v_subrev_u32_e32 v10, s18, v6
	v_cmp_le_u32_e32 vcc, s18, v6
	v_cndmask_b32_e32 v6, v6, v10, vcc
	v_cndmask_b32_e32 v2, v2, v9, vcc
	v_add_u32_e32 v9, 1, v2
	v_cmp_le_u32_e32 vcc, s18, v6
	v_cndmask_b32_e32 v9, v2, v9, vcc
	v_mov_b32_e32 v10, v5
.LBB0_6:                                ;   in Loop: Header=BB0_2 Depth=1
	s_or_b64 exec, exec, s[0:1]
	v_mul_lo_u32 v2, v10, s18
	v_mul_lo_u32 v6, v9, s19
	v_mad_u64_u32 v[11:12], s[0:1], v9, s18, 0
	s_load_dwordx2 s[0:1], s[6:7], 0x0
	s_add_u32 s14, s14, 1
	v_add3_u32 v2, v12, v6, v2
	v_sub_co_u32_e32 v6, vcc, v7, v11
	v_subb_co_u32_e32 v2, vcc, v8, v2, vcc
	s_waitcnt lgkmcnt(0)
	v_mul_lo_u32 v2, s0, v2
	v_mul_lo_u32 v7, s1, v6
	v_mad_u64_u32 v[3:4], s[0:1], s0, v6, v[3:4]
	s_addc_u32 s15, s15, 0
	s_add_u32 s6, s6, 8
	v_add3_u32 v4, v7, v4, v2
	v_mov_b32_e32 v6, s10
	v_mov_b32_e32 v7, s11
	s_addc_u32 s7, s7, 0
	v_cmp_ge_u64_e32 vcc, s[14:15], v[6:7]
	s_add_u32 s16, s16, 8
	s_addc_u32 s17, s17, 0
	s_cbranch_vccnz .LBB0_8
; %bb.7:                                ;   in Loop: Header=BB0_2 Depth=1
	v_mov_b32_e32 v7, v9
	v_mov_b32_e32 v8, v10
	s_branch .LBB0_2
.LBB0_8:
	s_lshl_b64 s[0:1], s[10:11], 3
	s_add_u32 s0, s12, s0
	s_addc_u32 s1, s13, s1
	s_load_dwordx2 s[0:1], s[0:1], 0x0
	s_mov_b32 s6, 0x38e38e39
	v_mul_hi_u32 v2, v1, s6
	s_waitcnt lgkmcnt(0)
	v_mul_lo_u32 v5, s0, v10
	v_mul_lo_u32 v6, s1, v9
	v_mad_u64_u32 v[3:4], s[0:1], s0, v9, v[3:4]
	v_lshrrev_b32_e32 v2, 2, v2
	s_load_dwordx2 s[0:1], s[4:5], 0x20
	v_mul_lo_u32 v2, v2, 18
	s_mov_b32 s4, 0x12492493
	v_add3_u32 v4, v6, v4, v5
	v_mul_hi_u32 v5, v0, s4
	v_sub_u32_e32 v1, v1, v2
	v_mul_u32_u24_e32 v2, 0x47, v1
	s_waitcnt lgkmcnt(0)
	v_cmp_gt_u64_e32 vcc, s[0:1], v[9:10]
	v_mul_u32_u24_e32 v1, 14, v5
	v_lshlrev_b64 v[30:31], 4, v[3:4]
	v_sub_u32_e32 v28, v0, v1
	v_lshlrev_b32_e32 v20, 4, v2
	s_and_saveexec_b64 s[4:5], vcc
	s_cbranch_execz .LBB0_12
; %bb.9:
	v_mov_b32_e32 v29, 0
	v_mov_b32_e32 v1, s3
	v_add_co_u32_e64 v0, s[0:1], s2, v30
	v_lshlrev_b64 v[3:4], 4, v[28:29]
	v_addc_co_u32_e64 v1, s[0:1], v1, v31, s[0:1]
	v_add_co_u32_e64 v25, s[0:1], v0, v3
	v_addc_co_u32_e64 v26, s[0:1], v1, v4, s[0:1]
	global_load_dwordx4 v[4:7], v[25:26], off
	global_load_dwordx4 v[8:11], v[25:26], off offset:224
	global_load_dwordx4 v[12:15], v[25:26], off offset:448
	;; [unrolled: 1-line block ×4, first 2 shown]
	v_lshlrev_b32_e32 v3, 4, v28
	v_add3_u32 v3, 0, v20, v3
	v_cmp_eq_u32_e64 s[0:1], 13, v28
	s_waitcnt vmcnt(4)
	ds_write_b128 v3, v[4:7]
	s_waitcnt vmcnt(3)
	ds_write_b128 v3, v[8:11] offset:224
	s_waitcnt vmcnt(2)
	ds_write_b128 v3, v[12:15] offset:448
	;; [unrolled: 2-line block ×4, first 2 shown]
	s_and_saveexec_b64 s[6:7], s[0:1]
	s_cbranch_execz .LBB0_11
; %bb.10:
	global_load_dwordx4 v[4:7], v[0:1], off offset:1120
	v_mov_b32_e32 v28, 13
	s_waitcnt vmcnt(0)
	ds_write_b128 v3, v[4:7] offset:912
.LBB0_11:
	s_or_b64 exec, exec, s[6:7]
.LBB0_12:
	s_or_b64 exec, exec, s[4:5]
	v_lshl_add_u32 v32, v2, 4, 0
	v_lshlrev_b32_e32 v8, 4, v28
	v_add_u32_e32 v33, v32, v8
	s_waitcnt lgkmcnt(0)
	s_barrier
	v_sub_u32_e32 v6, v32, v8
	ds_read_b64 v[2:3], v33
	ds_read_b64 v[4:5], v6 offset:1120
	v_cmp_ne_u32_e64 s[0:1], 0, v28
	s_waitcnt lgkmcnt(0)
	v_add_f64 v[0:1], v[2:3], v[4:5]
	v_add_f64 v[2:3], v[2:3], -v[4:5]
                                        ; implicit-def: $vgpr4_vgpr5
	s_and_saveexec_b64 s[4:5], s[0:1]
	s_xor_b64 s[4:5], exec, s[4:5]
	s_cbranch_execz .LBB0_14
; %bb.13:
	v_mov_b32_e32 v29, 0
	v_lshlrev_b64 v[4:5], 4, v[28:29]
	v_mov_b32_e32 v7, s9
	v_add_co_u32_e64 v4, s[0:1], s8, v4
	v_addc_co_u32_e64 v5, s[0:1], v7, v5, s[0:1]
	global_load_dwordx4 v[9:12], v[4:5], off offset:1088
	ds_read_b64 v[4:5], v6 offset:1128
	ds_read_b64 v[13:14], v33 offset:8
	s_waitcnt lgkmcnt(0)
	v_add_f64 v[15:16], v[4:5], v[13:14]
	v_add_f64 v[4:5], v[13:14], -v[4:5]
	s_waitcnt vmcnt(0)
	v_fma_f64 v[13:14], v[2:3], v[11:12], v[0:1]
	v_fma_f64 v[17:18], v[15:16], v[11:12], v[4:5]
	v_fma_f64 v[4:5], v[15:16], v[11:12], -v[4:5]
	v_fma_f64 v[0:1], -v[2:3], v[11:12], v[0:1]
	v_fma_f64 v[11:12], -v[15:16], v[9:10], v[13:14]
	v_fma_f64 v[13:14], v[2:3], v[9:10], v[17:18]
	v_fma_f64 v[2:3], v[2:3], v[9:10], v[4:5]
	;; [unrolled: 1-line block ×3, first 2 shown]
	v_mov_b32_e32 v4, v28
	v_mov_b32_e32 v5, v29
	ds_write_b128 v33, v[11:14]
	ds_write_b128 v6, v[0:3] offset:1120
                                        ; implicit-def: $vgpr0_vgpr1
.LBB0_14:
	s_andn2_saveexec_b64 s[0:1], s[4:5]
	s_cbranch_execz .LBB0_16
; %bb.15:
	ds_write_b128 v33, v[0:3]
	ds_read_b128 v[0:3], v32 offset:560
	v_mov_b32_e32 v4, 0
	v_mov_b32_e32 v5, 0
	s_waitcnt lgkmcnt(0)
	v_add_f64 v[0:1], v[0:1], v[0:1]
	v_mul_f64 v[2:3], v[2:3], -2.0
	ds_write_b128 v32, v[0:3] offset:560
.LBB0_16:
	s_or_b64 exec, exec, s[0:1]
	s_add_u32 s0, s8, 0x440
	v_lshlrev_b64 v[0:1], 4, v[4:5]
	s_addc_u32 s1, s9, 0
	v_mov_b32_e32 v2, s1
	v_add_co_u32_e64 v0, s[0:1], s0, v0
	v_addc_co_u32_e64 v1, s[0:1], v2, v1, s[0:1]
	global_load_dwordx4 v[2:5], v[0:1], off offset:224
	ds_read_b128 v[9:12], v33 offset:224
	ds_read_b128 v[13:16], v6 offset:896
	v_cmp_gt_u32_e64 s[0:1], 7, v28
	s_waitcnt lgkmcnt(0)
	v_add_f64 v[17:18], v[9:10], v[13:14]
	v_add_f64 v[21:22], v[15:16], v[11:12]
	v_add_f64 v[23:24], v[9:10], -v[13:14]
	v_add_f64 v[9:10], v[11:12], -v[15:16]
	s_waitcnt vmcnt(0)
	v_fma_f64 v[11:12], v[23:24], v[4:5], v[17:18]
	v_fma_f64 v[13:14], v[21:22], v[4:5], v[9:10]
	v_fma_f64 v[15:16], -v[23:24], v[4:5], v[17:18]
	v_fma_f64 v[4:5], v[21:22], v[4:5], -v[9:10]
	v_fma_f64 v[9:10], -v[21:22], v[2:3], v[11:12]
	v_fma_f64 v[11:12], v[23:24], v[2:3], v[13:14]
	v_fma_f64 v[13:14], v[21:22], v[2:3], v[15:16]
	;; [unrolled: 1-line block ×3, first 2 shown]
	ds_write_b128 v33, v[9:12] offset:224
	ds_write_b128 v6, v[13:16] offset:896
	s_and_saveexec_b64 s[4:5], s[0:1]
	s_cbranch_execz .LBB0_18
; %bb.17:
	global_load_dwordx4 v[0:3], v[0:1], off offset:448
	ds_read_b128 v[9:12], v33 offset:448
	ds_read_b128 v[13:16], v6 offset:672
	s_waitcnt lgkmcnt(0)
	v_add_f64 v[4:5], v[9:10], v[13:14]
	v_add_f64 v[17:18], v[15:16], v[11:12]
	v_add_f64 v[13:14], v[9:10], -v[13:14]
	v_add_f64 v[9:10], v[11:12], -v[15:16]
	s_waitcnt vmcnt(0)
	v_fma_f64 v[11:12], v[13:14], v[2:3], v[4:5]
	v_fma_f64 v[15:16], v[17:18], v[2:3], v[9:10]
	v_fma_f64 v[21:22], -v[13:14], v[2:3], v[4:5]
	v_fma_f64 v[23:24], v[17:18], v[2:3], -v[9:10]
	v_fma_f64 v[2:3], -v[17:18], v[0:1], v[11:12]
	v_fma_f64 v[4:5], v[13:14], v[0:1], v[15:16]
	v_fma_f64 v[9:10], v[17:18], v[0:1], v[21:22]
	;; [unrolled: 1-line block ×3, first 2 shown]
	ds_write_b128 v33, v[2:5] offset:448
	ds_write_b128 v6, v[9:12] offset:672
.LBB0_18:
	s_or_b64 exec, exec, s[4:5]
	v_add3_u32 v29, 0, v8, v20
	s_waitcnt lgkmcnt(0)
	s_barrier
	s_barrier
	ds_read_b128 v[0:3], v29 offset:560
	ds_read_b128 v[9:12], v33
	ds_read_b128 v[13:16], v29 offset:224
	ds_read_b128 v[4:7], v29 offset:448
	;; [unrolled: 1-line block ×3, first 2 shown]
	v_add_u32_e32 v8, v29, v8
	s_waitcnt lgkmcnt(3)
	v_add_f64 v[21:22], v[9:10], -v[0:1]
	v_add_f64 v[23:24], v[11:12], -v[2:3]
	ds_read_b128 v[0:3], v29 offset:1008
	s_waitcnt lgkmcnt(1)
	v_add_f64 v[34:35], v[13:14], -v[34:35]
	v_add_f64 v[36:37], v[15:16], -v[36:37]
	s_waitcnt lgkmcnt(0)
	s_barrier
	v_add_f64 v[0:1], v[4:5], -v[0:1]
	v_fma_f64 v[9:10], v[9:10], 2.0, -v[21:22]
	v_fma_f64 v[11:12], v[11:12], 2.0, -v[23:24]
	v_add_f64 v[2:3], v[6:7], -v[2:3]
	v_fma_f64 v[13:14], v[13:14], 2.0, -v[34:35]
	v_fma_f64 v[15:16], v[15:16], 2.0, -v[36:37]
	ds_write_b128 v8, v[21:24] offset:16
	ds_write_b128 v8, v[9:12]
	v_lshlrev_b32_e32 v8, 5, v28
	v_add3_u32 v8, v8, 0, v20
	ds_write_b128 v8, v[13:16] offset:448
	ds_write_b128 v8, v[34:37] offset:464
	s_and_saveexec_b64 s[4:5], s[0:1]
	s_cbranch_execz .LBB0_20
; %bb.19:
	v_fma_f64 v[6:7], v[6:7], 2.0, -v[2:3]
	v_fma_f64 v[4:5], v[4:5], 2.0, -v[0:1]
	ds_write_b128 v8, v[4:7] offset:896
	ds_write_b128 v8, v[0:3] offset:912
.LBB0_20:
	s_or_b64 exec, exec, s[4:5]
	v_and_b32_e32 v50, 1, v28
	v_lshlrev_b32_e32 v21, 6, v50
	s_waitcnt lgkmcnt(0)
	s_barrier
	global_load_dwordx4 v[4:7], v21, s[8:9]
	global_load_dwordx4 v[8:11], v21, s[8:9] offset:16
	global_load_dwordx4 v[12:15], v21, s[8:9] offset:48
	;; [unrolled: 1-line block ×3, first 2 shown]
	ds_read_b128 v[21:24], v29 offset:224
	ds_read_b128 v[34:37], v29 offset:448
	s_mov_b32 s4, 0x134454ff
	s_mov_b32 s5, 0xbfee6f0e
	;; [unrolled: 1-line block ×8, first 2 shown]
	s_waitcnt vmcnt(3) lgkmcnt(1)
	v_mul_f64 v[25:26], v[23:24], v[6:7]
	v_mul_f64 v[6:7], v[21:22], v[6:7]
	s_waitcnt vmcnt(2) lgkmcnt(0)
	v_mul_f64 v[38:39], v[36:37], v[10:11]
	v_mul_f64 v[10:11], v[34:35], v[10:11]
	v_fma_f64 v[21:22], v[21:22], v[4:5], v[25:26]
	v_fma_f64 v[23:24], v[23:24], v[4:5], -v[6:7]
	ds_read_b128 v[4:7], v29 offset:896
	v_fma_f64 v[34:35], v[34:35], v[8:9], v[38:39]
	v_fma_f64 v[36:37], v[36:37], v[8:9], -v[10:11]
	ds_read_b128 v[8:11], v29 offset:672
	s_waitcnt vmcnt(1) lgkmcnt(1)
	v_mul_f64 v[25:26], v[6:7], v[14:15]
	v_mul_f64 v[14:15], v[4:5], v[14:15]
	s_waitcnt vmcnt(0) lgkmcnt(0)
	v_mul_f64 v[38:39], v[10:11], v[18:19]
	v_add_f64 v[42:43], v[34:35], -v[21:22]
	v_fma_f64 v[25:26], v[4:5], v[12:13], v[25:26]
	v_mul_f64 v[4:5], v[8:9], v[18:19]
	v_fma_f64 v[12:13], v[6:7], v[12:13], -v[14:15]
	v_fma_f64 v[8:9], v[8:9], v[16:17], v[38:39]
	v_add_f64 v[14:15], v[21:22], v[25:26]
	v_fma_f64 v[10:11], v[10:11], v[16:17], -v[4:5]
	ds_read_b128 v[4:7], v33
	v_add_f64 v[18:19], v[34:35], v[8:9]
	v_add_f64 v[16:17], v[23:24], v[12:13]
	v_add_f64 v[44:45], v[34:35], -v[8:9]
	v_add_f64 v[46:47], v[8:9], -v[25:26]
	s_waitcnt lgkmcnt(0)
	v_add_f64 v[40:41], v[4:5], v[21:22]
	v_fma_f64 v[14:15], v[14:15], -0.5, v[4:5]
	v_add_f64 v[38:39], v[36:37], v[10:11]
	v_add_f64 v[48:49], v[10:11], -v[12:13]
	v_fma_f64 v[18:19], v[18:19], -0.5, v[4:5]
	v_add_f64 v[4:5], v[6:7], v[23:24]
	v_fma_f64 v[16:17], v[16:17], -0.5, v[6:7]
	v_add_f64 v[42:43], v[42:43], v[46:47]
	s_barrier
	v_fma_f64 v[38:39], v[38:39], -0.5, v[6:7]
	v_add_f64 v[6:7], v[40:41], v[34:35]
	v_add_f64 v[34:35], v[21:22], -v[34:35]
	v_add_f64 v[4:5], v[4:5], v[36:37]
	v_add_f64 v[21:22], v[21:22], -v[25:26]
	;; [unrolled: 2-line block ×3, first 2 shown]
	v_add_f64 v[40:41], v[4:5], v[10:11]
	v_add_f64 v[4:5], v[6:7], v[25:26]
	v_add_f64 v[25:26], v[36:37], -v[23:24]
	v_add_f64 v[6:7], v[40:41], v[12:13]
	v_add_f64 v[40:41], v[36:37], -v[10:11]
	v_add_f64 v[36:37], v[23:24], -v[36:37]
	;; [unrolled: 1-line block ×4, first 2 shown]
	v_add_f64 v[34:35], v[34:35], v[8:9]
	v_add_f64 v[26:27], v[25:26], v[48:49]
	v_fma_f64 v[8:9], v[40:41], s[6:7], v[14:15]
	v_add_f64 v[36:37], v[36:37], v[10:11]
	v_fma_f64 v[10:11], v[40:41], s[4:5], v[14:15]
	v_fma_f64 v[12:13], v[23:24], s[4:5], v[18:19]
	;; [unrolled: 1-line block ×13, first 2 shown]
	s_mov_b32 s4, 0x372fe950
	s_mov_b32 s5, 0x3fd3c6ef
	v_fma_f64 v[46:47], v[44:45], s[10:11], v[23:24]
	v_fma_f64 v[38:39], v[44:45], s[0:1], v[38:39]
	v_lshrrev_b32_e32 v12, 1, v28
	v_mul_u32_u24_e32 v48, 10, v12
	v_fma_f64 v[12:13], v[42:43], s[4:5], v[8:9]
	v_fma_f64 v[14:15], v[26:27], s[4:5], v[18:19]
	;; [unrolled: 1-line block ×8, first 2 shown]
	v_or_b32_e32 v21, v48, v50
	v_lshlrev_b32_e32 v21, 4, v21
	v_add3_u32 v20, 0, v21, v20
	v_cmp_gt_u32_e64 s[0:1], 10, v28
	ds_write_b128 v20, v[4:7]
	ds_write_b128 v20, v[8:11] offset:32
	ds_write_b128 v20, v[12:15] offset:64
	;; [unrolled: 1-line block ×4, first 2 shown]
	s_waitcnt lgkmcnt(0)
	s_barrier
	s_waitcnt lgkmcnt(0)
                                        ; implicit-def: $vgpr22_vgpr23
	s_and_saveexec_b64 s[4:5], s[0:1]
	s_cbranch_execz .LBB0_22
; %bb.21:
	ds_read_b128 v[4:7], v33
	ds_read_b128 v[8:11], v29 offset:160
	ds_read_b128 v[12:15], v29 offset:320
	;; [unrolled: 1-line block ×6, first 2 shown]
.LBB0_22:
	s_or_b64 exec, exec, s[4:5]
	s_waitcnt lgkmcnt(0)
	s_barrier
	s_and_saveexec_b64 s[4:5], s[0:1]
	s_cbranch_execz .LBB0_24
; %bb.23:
	v_add_u32_e32 v34, -10, v28
	v_cndmask_b32_e64 v34, v34, v28, s[0:1]
	v_mul_i32_i24_e32 v34, 6, v34
	v_mov_b32_e32 v35, 0
	v_lshlrev_b64 v[34:35], 4, v[34:35]
	v_mov_b32_e32 v36, s9
	v_add_co_u32_e64 v58, s[0:1], s8, v34
	v_addc_co_u32_e64 v59, s[0:1], v36, v35, s[0:1]
	global_load_dwordx4 v[34:37], v[58:59], off offset:160
	global_load_dwordx4 v[38:41], v[58:59], off offset:176
	global_load_dwordx4 v[42:45], v[58:59], off offset:144
	global_load_dwordx4 v[46:49], v[58:59], off offset:192
	global_load_dwordx4 v[50:53], v[58:59], off offset:128
	global_load_dwordx4 v[54:57], v[58:59], off offset:208
	s_mov_b32 s14, 0x37e14327
	s_mov_b32 s8, 0xe976ee23
	;; [unrolled: 1-line block ×16, first 2 shown]
	s_waitcnt vmcnt(5)
	v_mul_f64 v[58:59], v[26:27], v[36:37]
	v_mul_f64 v[36:37], v[24:25], v[36:37]
	v_fma_f64 v[24:25], v[24:25], v[34:35], v[58:59]
	v_fma_f64 v[26:27], v[26:27], v[34:35], -v[36:37]
	s_waitcnt vmcnt(4)
	v_mul_f64 v[34:35], v[18:19], v[40:41]
	v_mul_f64 v[36:37], v[16:17], v[40:41]
	s_waitcnt vmcnt(3)
	v_mul_f64 v[40:41], v[14:15], v[44:45]
	v_mul_f64 v[44:45], v[12:13], v[44:45]
	v_fma_f64 v[16:17], v[16:17], v[38:39], v[34:35]
	v_fma_f64 v[18:19], v[18:19], v[38:39], -v[36:37]
	s_waitcnt vmcnt(2)
	v_mul_f64 v[34:35], v[2:3], v[48:49]
	s_waitcnt vmcnt(1)
	v_mul_f64 v[36:37], v[10:11], v[52:53]
	s_waitcnt vmcnt(0)
	v_mul_f64 v[38:39], v[22:23], v[56:57]
	v_mul_f64 v[48:49], v[0:1], v[48:49]
	v_fma_f64 v[12:13], v[12:13], v[42:43], v[40:41]
	v_fma_f64 v[14:15], v[14:15], v[42:43], -v[44:45]
	v_mul_f64 v[40:41], v[8:9], v[52:53]
	v_mul_f64 v[42:43], v[20:21], v[56:57]
	v_fma_f64 v[0:1], v[0:1], v[46:47], v[34:35]
	v_fma_f64 v[8:9], v[8:9], v[50:51], v[36:37]
	;; [unrolled: 1-line block ×3, first 2 shown]
	v_fma_f64 v[2:3], v[2:3], v[46:47], -v[48:49]
	v_add_f64 v[34:35], v[16:17], -v[24:25]
	v_add_f64 v[16:17], v[24:25], v[16:17]
	v_fma_f64 v[10:11], v[10:11], v[50:51], -v[40:41]
	v_fma_f64 v[22:23], v[22:23], v[54:55], -v[42:43]
	v_add_f64 v[36:37], v[12:13], -v[0:1]
	v_add_f64 v[0:1], v[12:13], v[0:1]
	v_add_f64 v[38:39], v[8:9], -v[20:21]
	v_add_f64 v[42:43], v[14:15], v[2:3]
	v_add_f64 v[8:9], v[8:9], v[20:21]
	;; [unrolled: 1-line block ×3, first 2 shown]
	v_add_f64 v[12:13], v[18:19], -v[26:27]
	v_add_f64 v[44:45], v[10:11], v[22:23]
	v_add_f64 v[2:3], v[14:15], -v[2:3]
	v_add_f64 v[10:11], v[10:11], -v[22:23]
	v_add_f64 v[14:15], v[34:35], v[36:37]
	v_add_f64 v[18:19], v[34:35], -v[36:37]
	v_add_f64 v[48:49], v[0:1], v[8:9]
	v_add_f64 v[46:47], v[8:9], -v[16:17]
	v_add_f64 v[20:21], v[38:39], -v[34:35]
	v_add_f64 v[26:27], v[42:43], v[44:45]
	v_add_f64 v[24:25], v[44:45], -v[40:41]
	v_add_f64 v[22:23], v[40:41], -v[42:43]
	;; [unrolled: 1-line block ×4, first 2 shown]
	v_add_f64 v[16:17], v[16:17], v[48:49]
	v_add_f64 v[50:51], v[12:13], v[2:3]
	v_add_f64 v[36:37], v[36:37], -v[38:39]
	v_add_f64 v[26:27], v[40:41], v[26:27]
	v_add_f64 v[42:43], v[42:43], -v[44:45]
	v_add_f64 v[44:45], v[2:3], -v[10:11]
	;; [unrolled: 1-line block ×3, first 2 shown]
	v_mul_f64 v[24:25], v[24:25], s[14:15]
	v_mul_f64 v[46:47], v[46:47], s[14:15]
	v_add_f64 v[12:13], v[10:11], -v[12:13]
	v_add_f64 v[14:15], v[14:15], v[38:39]
	v_mul_f64 v[18:19], v[18:19], s[8:9]
	v_mul_f64 v[38:39], v[22:23], s[12:13]
	;; [unrolled: 1-line block ×3, first 2 shown]
	v_add_f64 v[2:3], v[6:7], v[26:27]
	v_add_f64 v[0:1], v[4:5], v[16:17]
	v_add_f64 v[10:11], v[50:51], v[10:11]
	v_mul_f64 v[50:51], v[36:37], s[16:17]
	v_mul_f64 v[52:53], v[44:45], s[16:17]
	;; [unrolled: 1-line block ×3, first 2 shown]
	v_fma_f64 v[22:23], v[22:23], s[12:13], v[24:25]
	v_fma_f64 v[6:7], v[34:35], s[12:13], v[46:47]
	v_fma_f64 v[24:25], v[42:43], s[18:19], -v[24:25]
	v_fma_f64 v[34:35], v[8:9], s[18:19], -v[46:47]
	s_mov_b32 s19, 0x3fe77f67
	v_fma_f64 v[54:55], v[20:21], s[6:7], v[18:19]
	v_fma_f64 v[4:5], v[12:13], s[6:7], v[48:49]
	s_mov_b32 s7, 0x3fd5d0dc
	v_fma_f64 v[18:19], v[36:37], s[16:17], -v[18:19]
	v_fma_f64 v[26:27], v[26:27], s[10:11], v[2:3]
	v_fma_f64 v[38:39], v[42:43], s[18:19], -v[38:39]
	v_fma_f64 v[16:17], v[16:17], s[10:11], v[0:1]
	v_fma_f64 v[20:21], v[20:21], s[6:7], -v[50:51]
	v_fma_f64 v[12:13], v[12:13], s[6:7], -v[52:53]
	;; [unrolled: 1-line block ×4, first 2 shown]
	v_fma_f64 v[40:41], v[14:15], s[0:1], v[54:55]
	v_fma_f64 v[4:5], v[10:11], s[0:1], v[4:5]
	;; [unrolled: 1-line block ×3, first 2 shown]
	v_add_f64 v[42:43], v[22:23], v[26:27]
	v_add_f64 v[22:23], v[24:25], v[26:27]
	;; [unrolled: 1-line block ×4, first 2 shown]
	v_fma_f64 v[20:21], v[14:15], s[0:1], v[20:21]
	v_fma_f64 v[38:39], v[10:11], s[0:1], v[12:13]
	v_add_f64 v[34:35], v[34:35], v[16:17]
	v_fma_f64 v[36:37], v[10:11], s[0:1], v[36:37]
	v_add_f64 v[8:9], v[8:9], v[16:17]
	v_add_f64 v[26:27], v[42:43], -v[40:41]
	v_add_f64 v[14:15], v[24:25], -v[18:19]
	v_add_f64 v[18:19], v[18:19], v[24:25]
	v_add_f64 v[24:25], v[4:5], v[44:45]
	;; [unrolled: 1-line block ×3, first 2 shown]
	v_add_f64 v[22:23], v[22:23], -v[20:21]
	v_add_f64 v[20:21], v[38:39], v[34:35]
	v_add_f64 v[16:17], v[8:9], -v[36:37]
	v_add_f64 v[12:13], v[36:37], v[8:9]
	;; [unrolled: 2-line block ×3, first 2 shown]
	v_add_f64 v[4:5], v[44:45], -v[4:5]
	ds_write_b128 v33, v[0:3]
	ds_write_b128 v29, v[24:27] offset:160
	ds_write_b128 v29, v[20:23] offset:320
	;; [unrolled: 1-line block ×6, first 2 shown]
.LBB0_24:
	s_or_b64 exec, exec, s[4:5]
	s_waitcnt lgkmcnt(0)
	s_barrier
	s_and_saveexec_b64 s[0:1], vcc
	s_cbranch_execz .LBB0_26
; %bb.25:
	v_lshl_add_u32 v10, v28, 4, v32
	v_mov_b32_e32 v29, 0
	ds_read_b128 v[0:3], v10
	v_mov_b32_e32 v4, s3
	v_add_co_u32_e32 v11, vcc, s2, v30
	v_addc_co_u32_e32 v12, vcc, v4, v31, vcc
	v_lshlrev_b64 v[4:5], 4, v[28:29]
	v_add_co_u32_e32 v8, vcc, v11, v4
	v_addc_co_u32_e32 v9, vcc, v12, v5, vcc
	ds_read_b128 v[4:7], v10 offset:224
	s_waitcnt lgkmcnt(1)
	global_store_dwordx4 v[8:9], v[0:3], off
	s_nop 0
	v_add_u32_e32 v0, 14, v28
	v_mov_b32_e32 v1, v29
	v_lshlrev_b64 v[0:1], 4, v[0:1]
	v_add_co_u32_e32 v0, vcc, v11, v0
	v_addc_co_u32_e32 v1, vcc, v12, v1, vcc
	s_waitcnt lgkmcnt(0)
	global_store_dwordx4 v[0:1], v[4:7], off
	ds_read_b128 v[0:3], v10 offset:448
	v_add_u32_e32 v4, 28, v28
	v_mov_b32_e32 v5, v29
	v_lshlrev_b64 v[4:5], 4, v[4:5]
	v_add_co_u32_e32 v8, vcc, v11, v4
	v_addc_co_u32_e32 v9, vcc, v12, v5, vcc
	ds_read_b128 v[4:7], v10 offset:672
	s_waitcnt lgkmcnt(1)
	global_store_dwordx4 v[8:9], v[0:3], off
	s_nop 0
	v_add_u32_e32 v0, 42, v28
	v_mov_b32_e32 v1, v29
	v_lshlrev_b64 v[0:1], 4, v[0:1]
	v_add_u32_e32 v28, 56, v28
	v_add_co_u32_e32 v0, vcc, v11, v0
	v_addc_co_u32_e32 v1, vcc, v12, v1, vcc
	s_waitcnt lgkmcnt(0)
	global_store_dwordx4 v[0:1], v[4:7], off
	ds_read_b128 v[0:3], v10 offset:896
	v_lshlrev_b64 v[4:5], 4, v[28:29]
	v_add_co_u32_e32 v4, vcc, v11, v4
	v_addc_co_u32_e32 v5, vcc, v12, v5, vcc
	s_waitcnt lgkmcnt(0)
	global_store_dwordx4 v[4:5], v[0:3], off
.LBB0_26:
	s_endpgm
	.section	.rodata,"a",@progbits
	.p2align	6, 0x0
	.amdhsa_kernel fft_rtc_back_len70_factors_2_5_7_wgs_252_tpt_14_halfLds_dp_ip_CI_unitstride_sbrr_C2R_dirReg
		.amdhsa_group_segment_fixed_size 0
		.amdhsa_private_segment_fixed_size 0
		.amdhsa_kernarg_size 88
		.amdhsa_user_sgpr_count 6
		.amdhsa_user_sgpr_private_segment_buffer 1
		.amdhsa_user_sgpr_dispatch_ptr 0
		.amdhsa_user_sgpr_queue_ptr 0
		.amdhsa_user_sgpr_kernarg_segment_ptr 1
		.amdhsa_user_sgpr_dispatch_id 0
		.amdhsa_user_sgpr_flat_scratch_init 0
		.amdhsa_user_sgpr_private_segment_size 0
		.amdhsa_uses_dynamic_stack 0
		.amdhsa_system_sgpr_private_segment_wavefront_offset 0
		.amdhsa_system_sgpr_workgroup_id_x 1
		.amdhsa_system_sgpr_workgroup_id_y 0
		.amdhsa_system_sgpr_workgroup_id_z 0
		.amdhsa_system_sgpr_workgroup_info 0
		.amdhsa_system_vgpr_workitem_id 0
		.amdhsa_next_free_vgpr 60
		.amdhsa_next_free_sgpr 22
		.amdhsa_reserve_vcc 1
		.amdhsa_reserve_flat_scratch 0
		.amdhsa_float_round_mode_32 0
		.amdhsa_float_round_mode_16_64 0
		.amdhsa_float_denorm_mode_32 3
		.amdhsa_float_denorm_mode_16_64 3
		.amdhsa_dx10_clamp 1
		.amdhsa_ieee_mode 1
		.amdhsa_fp16_overflow 0
		.amdhsa_exception_fp_ieee_invalid_op 0
		.amdhsa_exception_fp_denorm_src 0
		.amdhsa_exception_fp_ieee_div_zero 0
		.amdhsa_exception_fp_ieee_overflow 0
		.amdhsa_exception_fp_ieee_underflow 0
		.amdhsa_exception_fp_ieee_inexact 0
		.amdhsa_exception_int_div_zero 0
	.end_amdhsa_kernel
	.text
.Lfunc_end0:
	.size	fft_rtc_back_len70_factors_2_5_7_wgs_252_tpt_14_halfLds_dp_ip_CI_unitstride_sbrr_C2R_dirReg, .Lfunc_end0-fft_rtc_back_len70_factors_2_5_7_wgs_252_tpt_14_halfLds_dp_ip_CI_unitstride_sbrr_C2R_dirReg
                                        ; -- End function
	.section	.AMDGPU.csdata,"",@progbits
; Kernel info:
; codeLenInByte = 4652
; NumSgprs: 26
; NumVgprs: 60
; ScratchSize: 0
; MemoryBound: 0
; FloatMode: 240
; IeeeMode: 1
; LDSByteSize: 0 bytes/workgroup (compile time only)
; SGPRBlocks: 3
; VGPRBlocks: 14
; NumSGPRsForWavesPerEU: 26
; NumVGPRsForWavesPerEU: 60
; Occupancy: 4
; WaveLimiterHint : 1
; COMPUTE_PGM_RSRC2:SCRATCH_EN: 0
; COMPUTE_PGM_RSRC2:USER_SGPR: 6
; COMPUTE_PGM_RSRC2:TRAP_HANDLER: 0
; COMPUTE_PGM_RSRC2:TGID_X_EN: 1
; COMPUTE_PGM_RSRC2:TGID_Y_EN: 0
; COMPUTE_PGM_RSRC2:TGID_Z_EN: 0
; COMPUTE_PGM_RSRC2:TIDIG_COMP_CNT: 0
	.type	__hip_cuid_da2b643562dba3d0,@object ; @__hip_cuid_da2b643562dba3d0
	.section	.bss,"aw",@nobits
	.globl	__hip_cuid_da2b643562dba3d0
__hip_cuid_da2b643562dba3d0:
	.byte	0                               ; 0x0
	.size	__hip_cuid_da2b643562dba3d0, 1

	.ident	"AMD clang version 19.0.0git (https://github.com/RadeonOpenCompute/llvm-project roc-6.4.0 25133 c7fe45cf4b819c5991fe208aaa96edf142730f1d)"
	.section	".note.GNU-stack","",@progbits
	.addrsig
	.addrsig_sym __hip_cuid_da2b643562dba3d0
	.amdgpu_metadata
---
amdhsa.kernels:
  - .args:
      - .actual_access:  read_only
        .address_space:  global
        .offset:         0
        .size:           8
        .value_kind:     global_buffer
      - .offset:         8
        .size:           8
        .value_kind:     by_value
      - .actual_access:  read_only
        .address_space:  global
        .offset:         16
        .size:           8
        .value_kind:     global_buffer
      - .actual_access:  read_only
        .address_space:  global
        .offset:         24
        .size:           8
        .value_kind:     global_buffer
      - .offset:         32
        .size:           8
        .value_kind:     by_value
      - .actual_access:  read_only
        .address_space:  global
        .offset:         40
        .size:           8
        .value_kind:     global_buffer
      - .actual_access:  read_only
        .address_space:  global
        .offset:         48
        .size:           8
        .value_kind:     global_buffer
      - .offset:         56
        .size:           4
        .value_kind:     by_value
      - .actual_access:  read_only
        .address_space:  global
        .offset:         64
        .size:           8
        .value_kind:     global_buffer
      - .actual_access:  read_only
        .address_space:  global
        .offset:         72
        .size:           8
        .value_kind:     global_buffer
      - .address_space:  global
        .offset:         80
        .size:           8
        .value_kind:     global_buffer
    .group_segment_fixed_size: 0
    .kernarg_segment_align: 8
    .kernarg_segment_size: 88
    .language:       OpenCL C
    .language_version:
      - 2
      - 0
    .max_flat_workgroup_size: 252
    .name:           fft_rtc_back_len70_factors_2_5_7_wgs_252_tpt_14_halfLds_dp_ip_CI_unitstride_sbrr_C2R_dirReg
    .private_segment_fixed_size: 0
    .sgpr_count:     26
    .sgpr_spill_count: 0
    .symbol:         fft_rtc_back_len70_factors_2_5_7_wgs_252_tpt_14_halfLds_dp_ip_CI_unitstride_sbrr_C2R_dirReg.kd
    .uniform_work_group_size: 1
    .uses_dynamic_stack: false
    .vgpr_count:     60
    .vgpr_spill_count: 0
    .wavefront_size: 64
amdhsa.target:   amdgcn-amd-amdhsa--gfx906
amdhsa.version:
  - 1
  - 2
...

	.end_amdgpu_metadata
